;; amdgpu-corpus repo=ROCm/vllm kind=compiled arch=gfx1250 opt=O3
	.amdgcn_target "amdgcn-amd-amdhsa--gfx1250"
	.amdhsa_code_object_version 6
	.section	.text._ZN4vllm33apply_repetition_penalties_kernelIfEEvPT_PKbS4_PKS1_iii,"axG",@progbits,_ZN4vllm33apply_repetition_penalties_kernelIfEEvPT_PKbS4_PKS1_iii,comdat
	.protected	_ZN4vllm33apply_repetition_penalties_kernelIfEEvPT_PKbS4_PKS1_iii ; -- Begin function _ZN4vllm33apply_repetition_penalties_kernelIfEEvPT_PKbS4_PKS1_iii
	.globl	_ZN4vllm33apply_repetition_penalties_kernelIfEEvPT_PKbS4_PKS1_iii
	.p2align	8
	.type	_ZN4vllm33apply_repetition_penalties_kernelIfEEvPT_PKbS4_PKS1_iii,@function
_ZN4vllm33apply_repetition_penalties_kernelIfEEvPT_PKbS4_PKS1_iii: ; @_ZN4vllm33apply_repetition_penalties_kernelIfEEvPT_PKbS4_PKS1_iii
; %bb.0:
	s_load_b96 s[12:14], s[0:1], 0x20
	s_bfe_u32 s2, ttmp6, 0x4000c
	s_and_b32 s4, ttmp6, 15
	s_add_co_i32 s2, s2, 1
	s_getreg_b32 s3, hwreg(HW_REG_IB_STS2, 6, 4)
	s_mul_i32 s2, ttmp9, s2
	s_delay_alu instid0(SALU_CYCLE_1)
	s_add_co_i32 s4, s4, s2
	s_cmp_eq_u32 s3, 0
	s_cselect_b32 s2, ttmp9, s4
	s_wait_kmcnt 0x0
	s_cmp_ge_i32 s2, s12
	s_cbranch_scc1 .LBB0_12
; %bb.1:
	s_bfe_u32 s4, ttmp6, 0x40010
	s_bfe_u32 s5, ttmp6, 0x40004
	s_add_co_i32 s4, s4, 1
	s_delay_alu instid0(SALU_CYCLE_1) | instskip(NEXT) | instid1(SALU_CYCLE_1)
	s_mul_i32 s4, ttmp7, s4
	s_add_co_i32 s5, s5, s4
	s_cmp_eq_u32 s3, 0
	s_cselect_b32 s3, ttmp7, s5
	s_delay_alu instid0(SALU_CYCLE_1) | instskip(NEXT) | instid1(SALU_CYCLE_1)
	s_mul_i32 s3, s14, s3
	v_add_nc_u32_e32 v0, s3, v0
	s_add_co_i32 s3, s3, s14
	s_delay_alu instid0(SALU_CYCLE_1) | instskip(SKIP_1) | instid1(VALU_DEP_1)
	s_min_i32 s12, s3, s13
	s_mov_b32 s3, exec_lo
	v_cmpx_gt_i32_e64 s12, v0
	s_cbranch_execz .LBB0_12
; %bb.2:
	s_load_b256 s[4:11], s[0:1], 0x0
	s_ashr_i32 s3, s2, 31
	s_load_b32 s16, s[0:1], 0x3c
	s_lshl_b64 s[14:15], s[2:3], 2
	s_wait_kmcnt 0x0
	s_add_nc_u64 s[0:1], s[10:11], s[14:15]
	s_load_b32 s10, s[0:1], 0x0
	s_wait_xcnt 0x0
	s_ashr_i32 s1, s13, 31
	s_mov_b32 s0, s13
	s_delay_alu instid0(SALU_CYCLE_1)
	s_mul_u64 s[0:1], s[0:1], s[2:3]
	s_and_b32 s2, s16, 0xffff
	s_mov_b32 s3, 0
	s_branch .LBB0_5
.LBB0_3:                                ;   in Loop: Header=BB0_5 Depth=1
	s_or_b32 exec_lo, exec_lo, s13
	global_store_b32 v[2:3], v4, off
.LBB0_4:                                ;   in Loop: Header=BB0_5 Depth=1
	s_wait_xcnt 0x0
	s_or_b32 exec_lo, exec_lo, s11
	v_add_nc_u32_e32 v0, s2, v0
	s_delay_alu instid0(VALU_DEP_1) | instskip(SKIP_1) | instid1(SALU_CYCLE_1)
	v_cmp_le_i32_e32 vcc_lo, s12, v0
	s_or_b32 s3, vcc_lo, s3
	s_and_not1_b32 exec_lo, exec_lo, s3
	s_cbranch_execz .LBB0_12
.LBB0_5:                                ; =>This Inner Loop Header: Depth=1
	v_ashrrev_i32_e32 v1, 31, v0
	s_mov_b32 s13, -1
	s_delay_alu instid0(VALU_DEP_1) | instskip(NEXT) | instid1(VALU_DEP_1)
	v_add_nc_u64_e32 v[2:3], s[0:1], v[0:1]
	v_add_nc_u64_e32 v[4:5], s[6:7], v[2:3]
	global_load_u8 v1, v[4:5], off
	s_wait_loadcnt 0x0
	v_and_b32_e32 v1, 1, v1
	s_delay_alu instid0(VALU_DEP_1)
	v_cmp_eq_u32_e32 vcc_lo, 1, v1
	s_xor_b32 s14, vcc_lo, -1
	s_wait_xcnt 0x0
	s_and_saveexec_b32 s11, s14
	s_cbranch_execz .LBB0_7
; %bb.6:                                ;   in Loop: Header=BB0_5 Depth=1
	v_add_nc_u64_e32 v[4:5], s[8:9], v[2:3]
	global_load_u8 v1, v[4:5], off
	s_wait_loadcnt 0x0
	v_and_b32_e32 v1, 1, v1
	s_delay_alu instid0(VALU_DEP_1)
	v_cmp_eq_u32_e32 vcc_lo, 1, v1
	s_or_not1_b32 s13, vcc_lo, exec_lo
.LBB0_7:                                ;   in Loop: Header=BB0_5 Depth=1
	s_wait_xcnt 0x0
	s_or_b32 exec_lo, exec_lo, s11
	s_and_saveexec_b32 s11, s13
	s_cbranch_execz .LBB0_4
; %bb.8:                                ;   in Loop: Header=BB0_5 Depth=1
	v_lshl_add_u64 v[2:3], v[2:3], 2, s[4:5]
	s_mov_b32 s13, exec_lo
                                        ; implicit-def: $vgpr4
	global_load_b32 v1, v[2:3], off
	s_wait_loadcnt 0x0
	s_wait_xcnt 0x0
	v_cmpx_nlt_f32_e32 0, v1
	s_xor_b32 s13, exec_lo, s13
	s_cbranch_execz .LBB0_10
; %bb.9:                                ;   in Loop: Header=BB0_5 Depth=1
	s_wait_kmcnt 0x0
	v_mul_f32_e32 v4, s10, v1
                                        ; implicit-def: $vgpr1
.LBB0_10:                               ;   in Loop: Header=BB0_5 Depth=1
	s_and_not1_saveexec_b32 s13, s13
	s_cbranch_execz .LBB0_3
; %bb.11:                               ;   in Loop: Header=BB0_5 Depth=1
	s_wait_kmcnt 0x0
	v_div_scale_f32 v4, null, s10, s10, v1
	s_delay_alu instid0(VALU_DEP_1) | instskip(SKIP_1) | instid1(TRANS32_DEP_1)
	v_rcp_f32_e32 v5, v4
	v_nop
	v_fma_f32 v6, -v4, v5, 1.0
	s_delay_alu instid0(VALU_DEP_1) | instskip(SKIP_1) | instid1(VALU_DEP_1)
	v_fmac_f32_e32 v5, v6, v5
	v_div_scale_f32 v6, vcc_lo, v1, s10, v1
	v_mul_f32_e32 v7, v6, v5
	s_delay_alu instid0(VALU_DEP_1) | instskip(NEXT) | instid1(VALU_DEP_1)
	v_fma_f32 v8, -v4, v7, v6
	v_fmac_f32_e32 v7, v8, v5
	s_delay_alu instid0(VALU_DEP_1) | instskip(NEXT) | instid1(VALU_DEP_1)
	v_fma_f32 v4, -v4, v7, v6
	v_div_fmas_f32 v4, v4, v5, v7
	s_delay_alu instid0(VALU_DEP_1)
	v_div_fixup_f32 v4, v4, s10, v1
	s_branch .LBB0_3
.LBB0_12:
	s_endpgm
	.section	.rodata,"a",@progbits
	.p2align	6, 0x0
	.amdhsa_kernel _ZN4vllm33apply_repetition_penalties_kernelIfEEvPT_PKbS4_PKS1_iii
		.amdhsa_group_segment_fixed_size 0
		.amdhsa_private_segment_fixed_size 0
		.amdhsa_kernarg_size 304
		.amdhsa_user_sgpr_count 2
		.amdhsa_user_sgpr_dispatch_ptr 0
		.amdhsa_user_sgpr_queue_ptr 0
		.amdhsa_user_sgpr_kernarg_segment_ptr 1
		.amdhsa_user_sgpr_dispatch_id 0
		.amdhsa_user_sgpr_kernarg_preload_length 0
		.amdhsa_user_sgpr_kernarg_preload_offset 0
		.amdhsa_user_sgpr_private_segment_size 0
		.amdhsa_wavefront_size32 1
		.amdhsa_uses_dynamic_stack 0
		.amdhsa_enable_private_segment 0
		.amdhsa_system_sgpr_workgroup_id_x 1
		.amdhsa_system_sgpr_workgroup_id_y 1
		.amdhsa_system_sgpr_workgroup_id_z 0
		.amdhsa_system_sgpr_workgroup_info 0
		.amdhsa_system_vgpr_workitem_id 0
		.amdhsa_next_free_vgpr 9
		.amdhsa_next_free_sgpr 17
		.amdhsa_named_barrier_count 0
		.amdhsa_reserve_vcc 1
		.amdhsa_float_round_mode_32 0
		.amdhsa_float_round_mode_16_64 0
		.amdhsa_float_denorm_mode_32 3
		.amdhsa_float_denorm_mode_16_64 3
		.amdhsa_fp16_overflow 0
		.amdhsa_memory_ordered 1
		.amdhsa_forward_progress 1
		.amdhsa_inst_pref_size 5
		.amdhsa_round_robin_scheduling 0
		.amdhsa_exception_fp_ieee_invalid_op 0
		.amdhsa_exception_fp_denorm_src 0
		.amdhsa_exception_fp_ieee_div_zero 0
		.amdhsa_exception_fp_ieee_overflow 0
		.amdhsa_exception_fp_ieee_underflow 0
		.amdhsa_exception_fp_ieee_inexact 0
		.amdhsa_exception_int_div_zero 0
	.end_amdhsa_kernel
	.section	.text._ZN4vllm33apply_repetition_penalties_kernelIfEEvPT_PKbS4_PKS1_iii,"axG",@progbits,_ZN4vllm33apply_repetition_penalties_kernelIfEEvPT_PKbS4_PKS1_iii,comdat
.Lfunc_end0:
	.size	_ZN4vllm33apply_repetition_penalties_kernelIfEEvPT_PKbS4_PKS1_iii, .Lfunc_end0-_ZN4vllm33apply_repetition_penalties_kernelIfEEvPT_PKbS4_PKS1_iii
                                        ; -- End function
	.set _ZN4vllm33apply_repetition_penalties_kernelIfEEvPT_PKbS4_PKS1_iii.num_vgpr, 9
	.set _ZN4vllm33apply_repetition_penalties_kernelIfEEvPT_PKbS4_PKS1_iii.num_agpr, 0
	.set _ZN4vllm33apply_repetition_penalties_kernelIfEEvPT_PKbS4_PKS1_iii.numbered_sgpr, 17
	.set _ZN4vllm33apply_repetition_penalties_kernelIfEEvPT_PKbS4_PKS1_iii.num_named_barrier, 0
	.set _ZN4vllm33apply_repetition_penalties_kernelIfEEvPT_PKbS4_PKS1_iii.private_seg_size, 0
	.set _ZN4vllm33apply_repetition_penalties_kernelIfEEvPT_PKbS4_PKS1_iii.uses_vcc, 1
	.set _ZN4vllm33apply_repetition_penalties_kernelIfEEvPT_PKbS4_PKS1_iii.uses_flat_scratch, 0
	.set _ZN4vllm33apply_repetition_penalties_kernelIfEEvPT_PKbS4_PKS1_iii.has_dyn_sized_stack, 0
	.set _ZN4vllm33apply_repetition_penalties_kernelIfEEvPT_PKbS4_PKS1_iii.has_recursion, 0
	.set _ZN4vllm33apply_repetition_penalties_kernelIfEEvPT_PKbS4_PKS1_iii.has_indirect_call, 0
	.section	.AMDGPU.csdata,"",@progbits
; Kernel info:
; codeLenInByte = 548
; TotalNumSgprs: 19
; NumVgprs: 9
; ScratchSize: 0
; MemoryBound: 0
; FloatMode: 240
; IeeeMode: 1
; LDSByteSize: 0 bytes/workgroup (compile time only)
; SGPRBlocks: 0
; VGPRBlocks: 0
; NumSGPRsForWavesPerEU: 19
; NumVGPRsForWavesPerEU: 9
; NamedBarCnt: 0
; Occupancy: 16
; WaveLimiterHint : 0
; COMPUTE_PGM_RSRC2:SCRATCH_EN: 0
; COMPUTE_PGM_RSRC2:USER_SGPR: 2
; COMPUTE_PGM_RSRC2:TRAP_HANDLER: 0
; COMPUTE_PGM_RSRC2:TGID_X_EN: 1
; COMPUTE_PGM_RSRC2:TGID_Y_EN: 1
; COMPUTE_PGM_RSRC2:TGID_Z_EN: 0
; COMPUTE_PGM_RSRC2:TIDIG_COMP_CNT: 0
	.section	.text._ZN4vllm33apply_repetition_penalties_kernelIN3c104HalfEEEvPT_PKbS6_PKS3_iii,"axG",@progbits,_ZN4vllm33apply_repetition_penalties_kernelIN3c104HalfEEEvPT_PKbS6_PKS3_iii,comdat
	.protected	_ZN4vllm33apply_repetition_penalties_kernelIN3c104HalfEEEvPT_PKbS6_PKS3_iii ; -- Begin function _ZN4vllm33apply_repetition_penalties_kernelIN3c104HalfEEEvPT_PKbS6_PKS3_iii
	.globl	_ZN4vllm33apply_repetition_penalties_kernelIN3c104HalfEEEvPT_PKbS6_PKS3_iii
	.p2align	8
	.type	_ZN4vllm33apply_repetition_penalties_kernelIN3c104HalfEEEvPT_PKbS6_PKS3_iii,@function
_ZN4vllm33apply_repetition_penalties_kernelIN3c104HalfEEEvPT_PKbS6_PKS3_iii: ; @_ZN4vllm33apply_repetition_penalties_kernelIN3c104HalfEEEvPT_PKbS6_PKS3_iii
; %bb.0:
	s_load_b96 s[12:14], s[0:1], 0x20
	s_bfe_u32 s2, ttmp6, 0x4000c
	s_and_b32 s4, ttmp6, 15
	s_add_co_i32 s2, s2, 1
	s_getreg_b32 s3, hwreg(HW_REG_IB_STS2, 6, 4)
	s_mul_i32 s2, ttmp9, s2
	s_delay_alu instid0(SALU_CYCLE_1)
	s_add_co_i32 s4, s4, s2
	s_cmp_eq_u32 s3, 0
	s_cselect_b32 s2, ttmp9, s4
	s_wait_kmcnt 0x0
	s_cmp_ge_i32 s2, s12
	s_cbranch_scc1 .LBB1_12
; %bb.1:
	s_bfe_u32 s4, ttmp6, 0x40010
	s_bfe_u32 s5, ttmp6, 0x40004
	s_add_co_i32 s4, s4, 1
	s_delay_alu instid0(SALU_CYCLE_1) | instskip(NEXT) | instid1(SALU_CYCLE_1)
	s_mul_i32 s4, ttmp7, s4
	s_add_co_i32 s5, s5, s4
	s_cmp_eq_u32 s3, 0
	s_cselect_b32 s3, ttmp7, s5
	s_delay_alu instid0(SALU_CYCLE_1) | instskip(NEXT) | instid1(SALU_CYCLE_1)
	s_mul_i32 s3, s14, s3
	v_add_nc_u32_e32 v0, s3, v0
	s_add_co_i32 s3, s3, s14
	s_delay_alu instid0(SALU_CYCLE_1) | instskip(SKIP_1) | instid1(VALU_DEP_1)
	s_min_i32 s12, s3, s13
	s_mov_b32 s3, exec_lo
	v_cmpx_gt_i32_e64 s12, v0
	s_cbranch_execz .LBB1_12
; %bb.2:
	s_load_b256 s[4:11], s[0:1], 0x0
	v_mov_b32_e32 v1, s2
	s_ashr_i32 s3, s2, 31
	s_wait_kmcnt 0x0
	global_load_u16 v4, v1, s[10:11] scale_offset
	s_wait_xcnt 0x0
	s_load_b32 s10, s[0:1], 0x3c
	s_wait_xcnt 0x0
	s_ashr_i32 s1, s13, 31
	s_mov_b32 s0, s13
	s_delay_alu instid0(SALU_CYCLE_1)
	s_mul_u64 s[0:1], s[0:1], s[2:3]
	s_mov_b32 s3, 0
	s_wait_kmcnt 0x0
	s_and_b32 s2, s10, 0xffff
	s_wait_loadcnt 0x0
	v_cvt_f32_f16_e32 v1, v4
	s_delay_alu instid0(VALU_DEP_1)
	v_rcp_f32_e32 v5, v1
	s_branch .LBB1_5
.LBB1_3:                                ;   in Loop: Header=BB1_5 Depth=1
	s_or_b32 exec_lo, exec_lo, s11
	global_store_b16 v[2:3], v6, off
.LBB1_4:                                ;   in Loop: Header=BB1_5 Depth=1
	s_wait_xcnt 0x0
	s_or_b32 exec_lo, exec_lo, s10
	v_add_nc_u32_e32 v0, s2, v0
	s_delay_alu instid0(VALU_DEP_1) | instskip(SKIP_1) | instid1(SALU_CYCLE_1)
	v_cmp_le_i32_e32 vcc_lo, s12, v0
	s_or_b32 s3, vcc_lo, s3
	s_and_not1_b32 exec_lo, exec_lo, s3
	s_cbranch_execz .LBB1_12
.LBB1_5:                                ; =>This Inner Loop Header: Depth=1
	v_nop
	v_ashrrev_i32_e32 v1, 31, v0
	s_mov_b32 s11, -1
	s_delay_alu instid0(VALU_DEP_1) | instskip(NEXT) | instid1(VALU_DEP_1)
	v_add_nc_u64_e32 v[2:3], s[0:1], v[0:1]
	v_add_nc_u64_e32 v[6:7], s[6:7], v[2:3]
	global_load_u8 v1, v[6:7], off
	s_wait_loadcnt 0x0
	v_and_b32_e32 v1, 1, v1
	s_delay_alu instid0(VALU_DEP_1)
	v_cmp_eq_u32_e32 vcc_lo, 1, v1
	s_xor_b32 s13, vcc_lo, -1
	s_wait_xcnt 0x0
	s_and_saveexec_b32 s10, s13
	s_cbranch_execz .LBB1_7
; %bb.6:                                ;   in Loop: Header=BB1_5 Depth=1
	v_add_nc_u64_e32 v[6:7], s[8:9], v[2:3]
	global_load_u8 v1, v[6:7], off
	s_wait_loadcnt 0x0
	v_and_b32_e32 v1, 1, v1
	s_delay_alu instid0(VALU_DEP_1)
	v_cmp_eq_u32_e32 vcc_lo, 1, v1
	s_or_not1_b32 s11, vcc_lo, exec_lo
.LBB1_7:                                ;   in Loop: Header=BB1_5 Depth=1
	s_wait_xcnt 0x0
	s_or_b32 exec_lo, exec_lo, s10
	s_and_saveexec_b32 s10, s11
	s_cbranch_execz .LBB1_4
; %bb.8:                                ;   in Loop: Header=BB1_5 Depth=1
	v_lshl_add_u64 v[2:3], v[2:3], 1, s[4:5]
	s_mov_b32 s11, exec_lo
                                        ; implicit-def: $vgpr6
	global_load_u16 v1, v[2:3], off
	s_wait_loadcnt 0x0
	s_wait_xcnt 0x0
	v_cmpx_nlt_f16_e32 0, v1
	s_xor_b32 s11, exec_lo, s11
; %bb.9:                                ;   in Loop: Header=BB1_5 Depth=1
	v_mul_f16_e32 v6, v1, v4
                                        ; implicit-def: $vgpr1
; %bb.10:                               ;   in Loop: Header=BB1_5 Depth=1
	s_and_not1_saveexec_b32 s11, s11
	s_cbranch_execz .LBB1_3
; %bb.11:                               ;   in Loop: Header=BB1_5 Depth=1
	v_cvt_f32_f16_e32 v6, v1
	s_delay_alu instid0(VALU_DEP_1) | instskip(NEXT) | instid1(VALU_DEP_1)
	v_mul_f32_e32 v6, v6, v5
	v_fma_mix_f32 v7, -v4, v6, v1 op_sel_hi:[1,0,1]
	s_delay_alu instid0(VALU_DEP_1) | instskip(NEXT) | instid1(VALU_DEP_1)
	v_fmac_f32_e32 v6, v7, v5
	v_fma_mix_f32 v7, -v4, v6, v1 op_sel_hi:[1,0,1]
	s_delay_alu instid0(VALU_DEP_1) | instskip(NEXT) | instid1(VALU_DEP_1)
	v_mul_f32_e32 v7, v7, v5
	v_and_b32_e32 v7, 0xff800000, v7
	s_delay_alu instid0(VALU_DEP_1) | instskip(NEXT) | instid1(VALU_DEP_1)
	v_add_f32_e32 v6, v7, v6
	v_cvt_f16_f32_e32 v6, v6
	s_delay_alu instid0(VALU_DEP_1)
	v_div_fixup_f16 v6, v6, v4, v1
	s_branch .LBB1_3
.LBB1_12:
	s_endpgm
	.section	.rodata,"a",@progbits
	.p2align	6, 0x0
	.amdhsa_kernel _ZN4vllm33apply_repetition_penalties_kernelIN3c104HalfEEEvPT_PKbS6_PKS3_iii
		.amdhsa_group_segment_fixed_size 0
		.amdhsa_private_segment_fixed_size 0
		.amdhsa_kernarg_size 304
		.amdhsa_user_sgpr_count 2
		.amdhsa_user_sgpr_dispatch_ptr 0
		.amdhsa_user_sgpr_queue_ptr 0
		.amdhsa_user_sgpr_kernarg_segment_ptr 1
		.amdhsa_user_sgpr_dispatch_id 0
		.amdhsa_user_sgpr_kernarg_preload_length 0
		.amdhsa_user_sgpr_kernarg_preload_offset 0
		.amdhsa_user_sgpr_private_segment_size 0
		.amdhsa_wavefront_size32 1
		.amdhsa_uses_dynamic_stack 0
		.amdhsa_enable_private_segment 0
		.amdhsa_system_sgpr_workgroup_id_x 1
		.amdhsa_system_sgpr_workgroup_id_y 1
		.amdhsa_system_sgpr_workgroup_id_z 0
		.amdhsa_system_sgpr_workgroup_info 0
		.amdhsa_system_vgpr_workitem_id 0
		.amdhsa_next_free_vgpr 8
		.amdhsa_next_free_sgpr 15
		.amdhsa_named_barrier_count 0
		.amdhsa_reserve_vcc 1
		.amdhsa_float_round_mode_32 0
		.amdhsa_float_round_mode_16_64 0
		.amdhsa_float_denorm_mode_32 3
		.amdhsa_float_denorm_mode_16_64 3
		.amdhsa_fp16_overflow 0
		.amdhsa_memory_ordered 1
		.amdhsa_forward_progress 1
		.amdhsa_inst_pref_size 5
		.amdhsa_round_robin_scheduling 0
		.amdhsa_exception_fp_ieee_invalid_op 0
		.amdhsa_exception_fp_denorm_src 0
		.amdhsa_exception_fp_ieee_div_zero 0
		.amdhsa_exception_fp_ieee_overflow 0
		.amdhsa_exception_fp_ieee_underflow 0
		.amdhsa_exception_fp_ieee_inexact 0
		.amdhsa_exception_int_div_zero 0
	.end_amdhsa_kernel
	.section	.text._ZN4vllm33apply_repetition_penalties_kernelIN3c104HalfEEEvPT_PKbS6_PKS3_iii,"axG",@progbits,_ZN4vllm33apply_repetition_penalties_kernelIN3c104HalfEEEvPT_PKbS6_PKS3_iii,comdat
.Lfunc_end1:
	.size	_ZN4vllm33apply_repetition_penalties_kernelIN3c104HalfEEEvPT_PKbS6_PKS3_iii, .Lfunc_end1-_ZN4vllm33apply_repetition_penalties_kernelIN3c104HalfEEEvPT_PKbS6_PKS3_iii
                                        ; -- End function
	.set _ZN4vllm33apply_repetition_penalties_kernelIN3c104HalfEEEvPT_PKbS6_PKS3_iii.num_vgpr, 8
	.set _ZN4vllm33apply_repetition_penalties_kernelIN3c104HalfEEEvPT_PKbS6_PKS3_iii.num_agpr, 0
	.set _ZN4vllm33apply_repetition_penalties_kernelIN3c104HalfEEEvPT_PKbS6_PKS3_iii.numbered_sgpr, 15
	.set _ZN4vllm33apply_repetition_penalties_kernelIN3c104HalfEEEvPT_PKbS6_PKS3_iii.num_named_barrier, 0
	.set _ZN4vllm33apply_repetition_penalties_kernelIN3c104HalfEEEvPT_PKbS6_PKS3_iii.private_seg_size, 0
	.set _ZN4vllm33apply_repetition_penalties_kernelIN3c104HalfEEEvPT_PKbS6_PKS3_iii.uses_vcc, 1
	.set _ZN4vllm33apply_repetition_penalties_kernelIN3c104HalfEEEvPT_PKbS6_PKS3_iii.uses_flat_scratch, 0
	.set _ZN4vllm33apply_repetition_penalties_kernelIN3c104HalfEEEvPT_PKbS6_PKS3_iii.has_dyn_sized_stack, 0
	.set _ZN4vllm33apply_repetition_penalties_kernelIN3c104HalfEEEvPT_PKbS6_PKS3_iii.has_recursion, 0
	.set _ZN4vllm33apply_repetition_penalties_kernelIN3c104HalfEEEvPT_PKbS6_PKS3_iii.has_indirect_call, 0
	.section	.AMDGPU.csdata,"",@progbits
; Kernel info:
; codeLenInByte = 544
; TotalNumSgprs: 17
; NumVgprs: 8
; ScratchSize: 0
; MemoryBound: 0
; FloatMode: 240
; IeeeMode: 1
; LDSByteSize: 0 bytes/workgroup (compile time only)
; SGPRBlocks: 0
; VGPRBlocks: 0
; NumSGPRsForWavesPerEU: 17
; NumVGPRsForWavesPerEU: 8
; NamedBarCnt: 0
; Occupancy: 16
; WaveLimiterHint : 0
; COMPUTE_PGM_RSRC2:SCRATCH_EN: 0
; COMPUTE_PGM_RSRC2:USER_SGPR: 2
; COMPUTE_PGM_RSRC2:TRAP_HANDLER: 0
; COMPUTE_PGM_RSRC2:TGID_X_EN: 1
; COMPUTE_PGM_RSRC2:TGID_Y_EN: 1
; COMPUTE_PGM_RSRC2:TGID_Z_EN: 0
; COMPUTE_PGM_RSRC2:TIDIG_COMP_CNT: 0
	.section	.text._ZN4vllm33apply_repetition_penalties_kernelIN3c108BFloat16EEEvPT_PKbS6_PKS3_iii,"axG",@progbits,_ZN4vllm33apply_repetition_penalties_kernelIN3c108BFloat16EEEvPT_PKbS6_PKS3_iii,comdat
	.protected	_ZN4vllm33apply_repetition_penalties_kernelIN3c108BFloat16EEEvPT_PKbS6_PKS3_iii ; -- Begin function _ZN4vllm33apply_repetition_penalties_kernelIN3c108BFloat16EEEvPT_PKbS6_PKS3_iii
	.globl	_ZN4vllm33apply_repetition_penalties_kernelIN3c108BFloat16EEEvPT_PKbS6_PKS3_iii
	.p2align	8
	.type	_ZN4vllm33apply_repetition_penalties_kernelIN3c108BFloat16EEEvPT_PKbS6_PKS3_iii,@function
_ZN4vllm33apply_repetition_penalties_kernelIN3c108BFloat16EEEvPT_PKbS6_PKS3_iii: ; @_ZN4vllm33apply_repetition_penalties_kernelIN3c108BFloat16EEEvPT_PKbS6_PKS3_iii
; %bb.0:
	s_load_b96 s[12:14], s[0:1], 0x20
	s_bfe_u32 s2, ttmp6, 0x4000c
	s_and_b32 s4, ttmp6, 15
	s_add_co_i32 s2, s2, 1
	s_getreg_b32 s3, hwreg(HW_REG_IB_STS2, 6, 4)
	s_mul_i32 s2, ttmp9, s2
	s_delay_alu instid0(SALU_CYCLE_1)
	s_add_co_i32 s4, s4, s2
	s_cmp_eq_u32 s3, 0
	s_cselect_b32 s2, ttmp9, s4
	s_wait_kmcnt 0x0
	s_cmp_ge_i32 s2, s12
	s_cbranch_scc1 .LBB2_12
; %bb.1:
	s_bfe_u32 s4, ttmp6, 0x40010
	s_bfe_u32 s5, ttmp6, 0x40004
	s_add_co_i32 s4, s4, 1
	s_delay_alu instid0(SALU_CYCLE_1) | instskip(NEXT) | instid1(SALU_CYCLE_1)
	s_mul_i32 s4, ttmp7, s4
	s_add_co_i32 s5, s5, s4
	s_cmp_eq_u32 s3, 0
	s_cselect_b32 s3, ttmp7, s5
	s_delay_alu instid0(SALU_CYCLE_1) | instskip(NEXT) | instid1(SALU_CYCLE_1)
	s_mul_i32 s3, s14, s3
	v_add_nc_u32_e32 v0, s3, v0
	s_add_co_i32 s3, s3, s14
	s_delay_alu instid0(SALU_CYCLE_1) | instskip(SKIP_1) | instid1(VALU_DEP_1)
	s_min_i32 s12, s3, s13
	s_mov_b32 s3, exec_lo
	v_cmpx_gt_i32_e64 s12, v0
	s_cbranch_execz .LBB2_12
; %bb.2:
	s_load_b256 s[4:11], s[0:1], 0x0
	s_ashr_i32 s3, s2, 31
	s_delay_alu instid0(SALU_CYCLE_1)
	s_lshl_b64 s[14:15], s[2:3], 1
	s_wait_kmcnt 0x0
	s_add_nc_u64 s[10:11], s[10:11], s[14:15]
	s_load_b32 s14, s[0:1], 0x3c
	s_load_u16 s15, s[10:11], 0x0
	s_wait_xcnt 0x0
	s_ashr_i32 s1, s13, 31
	s_mov_b32 s0, s13
	s_mov_b32 s10, 0
	s_mul_u64 s[0:1], s[0:1], s[2:3]
	s_wait_kmcnt 0x0
	s_and_b32 s2, s14, 0xffff
	s_lshl_b32 s3, s15, 16
	s_branch .LBB2_5
.LBB2_3:                                ;   in Loop: Header=BB2_5 Depth=1
	s_or_b32 exec_lo, exec_lo, s13
	s_delay_alu instid0(VALU_DEP_1) | instskip(SKIP_1) | instid1(VALU_DEP_2)
	v_bfe_u32 v1, v4, 16, 1
	v_cmp_o_f32_e32 vcc_lo, v4, v4
	v_add3_u32 v1, v4, v1, 0x7fff
	s_delay_alu instid0(VALU_DEP_1) | instskip(NEXT) | instid1(VALU_DEP_1)
	v_lshrrev_b32_e32 v1, 16, v1
	v_cndmask_b32_e32 v1, 0x7fc0, v1, vcc_lo
	global_store_b16 v[2:3], v1, off
.LBB2_4:                                ;   in Loop: Header=BB2_5 Depth=1
	s_wait_xcnt 0x0
	s_or_b32 exec_lo, exec_lo, s11
	v_add_nc_u32_e32 v0, s2, v0
	s_delay_alu instid0(VALU_DEP_1) | instskip(SKIP_1) | instid1(SALU_CYCLE_1)
	v_cmp_le_i32_e32 vcc_lo, s12, v0
	s_or_b32 s10, vcc_lo, s10
	s_and_not1_b32 exec_lo, exec_lo, s10
	s_cbranch_execz .LBB2_12
.LBB2_5:                                ; =>This Inner Loop Header: Depth=1
	v_ashrrev_i32_e32 v1, 31, v0
	s_mov_b32 s13, -1
	s_delay_alu instid0(VALU_DEP_1) | instskip(NEXT) | instid1(VALU_DEP_1)
	v_add_nc_u64_e32 v[2:3], s[0:1], v[0:1]
	v_add_nc_u64_e32 v[4:5], s[6:7], v[2:3]
	global_load_u8 v1, v[4:5], off
	s_wait_loadcnt 0x0
	v_and_b32_e32 v1, 1, v1
	s_delay_alu instid0(VALU_DEP_1)
	v_cmp_eq_u32_e32 vcc_lo, 1, v1
	s_xor_b32 s14, vcc_lo, -1
	s_wait_xcnt 0x0
	s_and_saveexec_b32 s11, s14
	s_cbranch_execz .LBB2_7
; %bb.6:                                ;   in Loop: Header=BB2_5 Depth=1
	v_add_nc_u64_e32 v[4:5], s[8:9], v[2:3]
	global_load_u8 v1, v[4:5], off
	s_wait_loadcnt 0x0
	v_and_b32_e32 v1, 1, v1
	s_delay_alu instid0(VALU_DEP_1)
	v_cmp_eq_u32_e32 vcc_lo, 1, v1
	s_or_not1_b32 s13, vcc_lo, exec_lo
.LBB2_7:                                ;   in Loop: Header=BB2_5 Depth=1
	s_wait_xcnt 0x0
	s_or_b32 exec_lo, exec_lo, s11
	s_and_saveexec_b32 s11, s13
	s_cbranch_execz .LBB2_4
; %bb.8:                                ;   in Loop: Header=BB2_5 Depth=1
	v_lshl_add_u64 v[2:3], v[2:3], 1, s[4:5]
	s_mov_b32 s13, exec_lo
                                        ; implicit-def: $vgpr4
	global_load_u16 v1, v[2:3], off
	s_wait_loadcnt 0x0
	v_lshlrev_b32_e32 v1, 16, v1
	s_wait_xcnt 0x0
	s_delay_alu instid0(VALU_DEP_1)
	v_cmpx_nlt_f32_e32 0, v1
	s_xor_b32 s13, exec_lo, s13
; %bb.9:                                ;   in Loop: Header=BB2_5 Depth=1
	v_mul_f32_e32 v4, s3, v1
                                        ; implicit-def: $vgpr1
; %bb.10:                               ;   in Loop: Header=BB2_5 Depth=1
	s_and_not1_saveexec_b32 s13, s13
	s_cbranch_execz .LBB2_3
; %bb.11:                               ;   in Loop: Header=BB2_5 Depth=1
	v_div_scale_f32 v4, null, s3, s3, v1
	s_delay_alu instid0(VALU_DEP_1) | instskip(SKIP_1) | instid1(TRANS32_DEP_1)
	v_rcp_f32_e32 v5, v4
	v_nop
	v_fma_f32 v6, -v4, v5, 1.0
	s_delay_alu instid0(VALU_DEP_1) | instskip(SKIP_1) | instid1(VALU_DEP_1)
	v_fmac_f32_e32 v5, v6, v5
	v_div_scale_f32 v6, vcc_lo, v1, s3, v1
	v_mul_f32_e32 v7, v6, v5
	s_delay_alu instid0(VALU_DEP_1) | instskip(NEXT) | instid1(VALU_DEP_1)
	v_fma_f32 v8, -v4, v7, v6
	v_fmac_f32_e32 v7, v8, v5
	s_delay_alu instid0(VALU_DEP_1) | instskip(NEXT) | instid1(VALU_DEP_1)
	v_fma_f32 v4, -v4, v7, v6
	v_div_fmas_f32 v4, v4, v5, v7
	s_delay_alu instid0(VALU_DEP_1)
	v_div_fixup_f32 v4, v4, s3, v1
	s_branch .LBB2_3
.LBB2_12:
	s_endpgm
	.section	.rodata,"a",@progbits
	.p2align	6, 0x0
	.amdhsa_kernel _ZN4vllm33apply_repetition_penalties_kernelIN3c108BFloat16EEEvPT_PKbS6_PKS3_iii
		.amdhsa_group_segment_fixed_size 0
		.amdhsa_private_segment_fixed_size 0
		.amdhsa_kernarg_size 304
		.amdhsa_user_sgpr_count 2
		.amdhsa_user_sgpr_dispatch_ptr 0
		.amdhsa_user_sgpr_queue_ptr 0
		.amdhsa_user_sgpr_kernarg_segment_ptr 1
		.amdhsa_user_sgpr_dispatch_id 0
		.amdhsa_user_sgpr_kernarg_preload_length 0
		.amdhsa_user_sgpr_kernarg_preload_offset 0
		.amdhsa_user_sgpr_private_segment_size 0
		.amdhsa_wavefront_size32 1
		.amdhsa_uses_dynamic_stack 0
		.amdhsa_enable_private_segment 0
		.amdhsa_system_sgpr_workgroup_id_x 1
		.amdhsa_system_sgpr_workgroup_id_y 1
		.amdhsa_system_sgpr_workgroup_id_z 0
		.amdhsa_system_sgpr_workgroup_info 0
		.amdhsa_system_vgpr_workitem_id 0
		.amdhsa_next_free_vgpr 9
		.amdhsa_next_free_sgpr 16
		.amdhsa_named_barrier_count 0
		.amdhsa_reserve_vcc 1
		.amdhsa_float_round_mode_32 0
		.amdhsa_float_round_mode_16_64 0
		.amdhsa_float_denorm_mode_32 3
		.amdhsa_float_denorm_mode_16_64 3
		.amdhsa_fp16_overflow 0
		.amdhsa_memory_ordered 1
		.amdhsa_forward_progress 1
		.amdhsa_inst_pref_size 5
		.amdhsa_round_robin_scheduling 0
		.amdhsa_exception_fp_ieee_invalid_op 0
		.amdhsa_exception_fp_denorm_src 0
		.amdhsa_exception_fp_ieee_div_zero 0
		.amdhsa_exception_fp_ieee_overflow 0
		.amdhsa_exception_fp_ieee_underflow 0
		.amdhsa_exception_fp_ieee_inexact 0
		.amdhsa_exception_int_div_zero 0
	.end_amdhsa_kernel
	.section	.text._ZN4vllm33apply_repetition_penalties_kernelIN3c108BFloat16EEEvPT_PKbS6_PKS3_iii,"axG",@progbits,_ZN4vllm33apply_repetition_penalties_kernelIN3c108BFloat16EEEvPT_PKbS6_PKS3_iii,comdat
.Lfunc_end2:
	.size	_ZN4vllm33apply_repetition_penalties_kernelIN3c108BFloat16EEEvPT_PKbS6_PKS3_iii, .Lfunc_end2-_ZN4vllm33apply_repetition_penalties_kernelIN3c108BFloat16EEEvPT_PKbS6_PKS3_iii
                                        ; -- End function
	.set _ZN4vllm33apply_repetition_penalties_kernelIN3c108BFloat16EEEvPT_PKbS6_PKS3_iii.num_vgpr, 9
	.set _ZN4vllm33apply_repetition_penalties_kernelIN3c108BFloat16EEEvPT_PKbS6_PKS3_iii.num_agpr, 0
	.set _ZN4vllm33apply_repetition_penalties_kernelIN3c108BFloat16EEEvPT_PKbS6_PKS3_iii.numbered_sgpr, 16
	.set _ZN4vllm33apply_repetition_penalties_kernelIN3c108BFloat16EEEvPT_PKbS6_PKS3_iii.num_named_barrier, 0
	.set _ZN4vllm33apply_repetition_penalties_kernelIN3c108BFloat16EEEvPT_PKbS6_PKS3_iii.private_seg_size, 0
	.set _ZN4vllm33apply_repetition_penalties_kernelIN3c108BFloat16EEEvPT_PKbS6_PKS3_iii.uses_vcc, 1
	.set _ZN4vllm33apply_repetition_penalties_kernelIN3c108BFloat16EEEvPT_PKbS6_PKS3_iii.uses_flat_scratch, 0
	.set _ZN4vllm33apply_repetition_penalties_kernelIN3c108BFloat16EEEvPT_PKbS6_PKS3_iii.has_dyn_sized_stack, 0
	.set _ZN4vllm33apply_repetition_penalties_kernelIN3c108BFloat16EEEvPT_PKbS6_PKS3_iii.has_recursion, 0
	.set _ZN4vllm33apply_repetition_penalties_kernelIN3c108BFloat16EEEvPT_PKbS6_PKS3_iii.has_indirect_call, 0
	.section	.AMDGPU.csdata,"",@progbits
; Kernel info:
; codeLenInByte = 596
; TotalNumSgprs: 18
; NumVgprs: 9
; ScratchSize: 0
; MemoryBound: 0
; FloatMode: 240
; IeeeMode: 1
; LDSByteSize: 0 bytes/workgroup (compile time only)
; SGPRBlocks: 0
; VGPRBlocks: 0
; NumSGPRsForWavesPerEU: 18
; NumVGPRsForWavesPerEU: 9
; NamedBarCnt: 0
; Occupancy: 16
; WaveLimiterHint : 0
; COMPUTE_PGM_RSRC2:SCRATCH_EN: 0
; COMPUTE_PGM_RSRC2:USER_SGPR: 2
; COMPUTE_PGM_RSRC2:TRAP_HANDLER: 0
; COMPUTE_PGM_RSRC2:TGID_X_EN: 1
; COMPUTE_PGM_RSRC2:TGID_Y_EN: 1
; COMPUTE_PGM_RSRC2:TGID_Z_EN: 0
; COMPUTE_PGM_RSRC2:TIDIG_COMP_CNT: 0
	.section	.AMDGPU.gpr_maximums,"",@progbits
	.set amdgpu.max_num_vgpr, 0
	.set amdgpu.max_num_agpr, 0
	.set amdgpu.max_num_sgpr, 0
	.section	.AMDGPU.csdata,"",@progbits
	.type	__hip_cuid_3af3692c37cd2443,@object ; @__hip_cuid_3af3692c37cd2443
	.section	.bss,"aw",@nobits
	.globl	__hip_cuid_3af3692c37cd2443
__hip_cuid_3af3692c37cd2443:
	.byte	0                               ; 0x0
	.size	__hip_cuid_3af3692c37cd2443, 1

	.ident	"AMD clang version 22.0.0git (https://github.com/RadeonOpenCompute/llvm-project roc-7.2.4 26084 f58b06dce1f9c15707c5f808fd002e18c2accf7e)"
	.section	".note.GNU-stack","",@progbits
	.addrsig
	.addrsig_sym __hip_cuid_3af3692c37cd2443
	.amdgpu_metadata
---
amdhsa.kernels:
  - .args:
      - .address_space:  global
        .offset:         0
        .size:           8
        .value_kind:     global_buffer
      - .actual_access:  read_only
        .address_space:  global
        .offset:         8
        .size:           8
        .value_kind:     global_buffer
      - .actual_access:  read_only
        .address_space:  global
        .offset:         16
        .size:           8
        .value_kind:     global_buffer
      - .actual_access:  read_only
        .address_space:  global
        .offset:         24
        .size:           8
        .value_kind:     global_buffer
      - .offset:         32
        .size:           4
        .value_kind:     by_value
      - .offset:         36
        .size:           4
        .value_kind:     by_value
      - .offset:         40
        .size:           4
        .value_kind:     by_value
      - .offset:         48
        .size:           4
        .value_kind:     hidden_block_count_x
      - .offset:         52
        .size:           4
        .value_kind:     hidden_block_count_y
      - .offset:         56
        .size:           4
        .value_kind:     hidden_block_count_z
      - .offset:         60
        .size:           2
        .value_kind:     hidden_group_size_x
      - .offset:         62
        .size:           2
        .value_kind:     hidden_group_size_y
      - .offset:         64
        .size:           2
        .value_kind:     hidden_group_size_z
      - .offset:         66
        .size:           2
        .value_kind:     hidden_remainder_x
      - .offset:         68
        .size:           2
        .value_kind:     hidden_remainder_y
      - .offset:         70
        .size:           2
        .value_kind:     hidden_remainder_z
      - .offset:         88
        .size:           8
        .value_kind:     hidden_global_offset_x
      - .offset:         96
        .size:           8
        .value_kind:     hidden_global_offset_y
      - .offset:         104
        .size:           8
        .value_kind:     hidden_global_offset_z
      - .offset:         112
        .size:           2
        .value_kind:     hidden_grid_dims
    .group_segment_fixed_size: 0
    .kernarg_segment_align: 8
    .kernarg_segment_size: 304
    .language:       OpenCL C
    .language_version:
      - 2
      - 0
    .max_flat_workgroup_size: 1024
    .name:           _ZN4vllm33apply_repetition_penalties_kernelIfEEvPT_PKbS4_PKS1_iii
    .private_segment_fixed_size: 0
    .sgpr_count:     19
    .sgpr_spill_count: 0
    .symbol:         _ZN4vllm33apply_repetition_penalties_kernelIfEEvPT_PKbS4_PKS1_iii.kd
    .uniform_work_group_size: 1
    .uses_dynamic_stack: false
    .vgpr_count:     9
    .vgpr_spill_count: 0
    .wavefront_size: 32
  - .args:
      - .address_space:  global
        .offset:         0
        .size:           8
        .value_kind:     global_buffer
      - .actual_access:  read_only
        .address_space:  global
        .offset:         8
        .size:           8
        .value_kind:     global_buffer
      - .actual_access:  read_only
        .address_space:  global
        .offset:         16
        .size:           8
        .value_kind:     global_buffer
      - .actual_access:  read_only
        .address_space:  global
        .offset:         24
        .size:           8
        .value_kind:     global_buffer
      - .offset:         32
        .size:           4
        .value_kind:     by_value
      - .offset:         36
        .size:           4
        .value_kind:     by_value
      - .offset:         40
        .size:           4
        .value_kind:     by_value
      - .offset:         48
        .size:           4
        .value_kind:     hidden_block_count_x
      - .offset:         52
        .size:           4
        .value_kind:     hidden_block_count_y
      - .offset:         56
        .size:           4
        .value_kind:     hidden_block_count_z
      - .offset:         60
        .size:           2
        .value_kind:     hidden_group_size_x
      - .offset:         62
        .size:           2
        .value_kind:     hidden_group_size_y
      - .offset:         64
        .size:           2
        .value_kind:     hidden_group_size_z
      - .offset:         66
        .size:           2
        .value_kind:     hidden_remainder_x
      - .offset:         68
        .size:           2
        .value_kind:     hidden_remainder_y
      - .offset:         70
        .size:           2
        .value_kind:     hidden_remainder_z
      - .offset:         88
        .size:           8
        .value_kind:     hidden_global_offset_x
      - .offset:         96
        .size:           8
        .value_kind:     hidden_global_offset_y
      - .offset:         104
        .size:           8
        .value_kind:     hidden_global_offset_z
      - .offset:         112
        .size:           2
        .value_kind:     hidden_grid_dims
    .group_segment_fixed_size: 0
    .kernarg_segment_align: 8
    .kernarg_segment_size: 304
    .language:       OpenCL C
    .language_version:
      - 2
      - 0
    .max_flat_workgroup_size: 1024
    .name:           _ZN4vllm33apply_repetition_penalties_kernelIN3c104HalfEEEvPT_PKbS6_PKS3_iii
    .private_segment_fixed_size: 0
    .sgpr_count:     17
    .sgpr_spill_count: 0
    .symbol:         _ZN4vllm33apply_repetition_penalties_kernelIN3c104HalfEEEvPT_PKbS6_PKS3_iii.kd
    .uniform_work_group_size: 1
    .uses_dynamic_stack: false
    .vgpr_count:     8
    .vgpr_spill_count: 0
    .wavefront_size: 32
  - .args:
      - .address_space:  global
        .offset:         0
        .size:           8
        .value_kind:     global_buffer
      - .actual_access:  read_only
        .address_space:  global
        .offset:         8
        .size:           8
        .value_kind:     global_buffer
      - .actual_access:  read_only
        .address_space:  global
        .offset:         16
        .size:           8
        .value_kind:     global_buffer
      - .actual_access:  read_only
        .address_space:  global
        .offset:         24
        .size:           8
        .value_kind:     global_buffer
      - .offset:         32
        .size:           4
        .value_kind:     by_value
      - .offset:         36
        .size:           4
        .value_kind:     by_value
      - .offset:         40
        .size:           4
        .value_kind:     by_value
      - .offset:         48
        .size:           4
        .value_kind:     hidden_block_count_x
      - .offset:         52
        .size:           4
        .value_kind:     hidden_block_count_y
      - .offset:         56
        .size:           4
        .value_kind:     hidden_block_count_z
      - .offset:         60
        .size:           2
        .value_kind:     hidden_group_size_x
      - .offset:         62
        .size:           2
        .value_kind:     hidden_group_size_y
      - .offset:         64
        .size:           2
        .value_kind:     hidden_group_size_z
      - .offset:         66
        .size:           2
        .value_kind:     hidden_remainder_x
      - .offset:         68
        .size:           2
        .value_kind:     hidden_remainder_y
      - .offset:         70
        .size:           2
        .value_kind:     hidden_remainder_z
      - .offset:         88
        .size:           8
        .value_kind:     hidden_global_offset_x
      - .offset:         96
        .size:           8
        .value_kind:     hidden_global_offset_y
      - .offset:         104
        .size:           8
        .value_kind:     hidden_global_offset_z
      - .offset:         112
        .size:           2
        .value_kind:     hidden_grid_dims
    .group_segment_fixed_size: 0
    .kernarg_segment_align: 8
    .kernarg_segment_size: 304
    .language:       OpenCL C
    .language_version:
      - 2
      - 0
    .max_flat_workgroup_size: 1024
    .name:           _ZN4vllm33apply_repetition_penalties_kernelIN3c108BFloat16EEEvPT_PKbS6_PKS3_iii
    .private_segment_fixed_size: 0
    .sgpr_count:     18
    .sgpr_spill_count: 0
    .symbol:         _ZN4vllm33apply_repetition_penalties_kernelIN3c108BFloat16EEEvPT_PKbS6_PKS3_iii.kd
    .uniform_work_group_size: 1
    .uses_dynamic_stack: false
    .vgpr_count:     9
    .vgpr_spill_count: 0
    .wavefront_size: 32
amdhsa.target:   amdgcn-amd-amdhsa--gfx1250
amdhsa.version:
  - 1
  - 2
...

	.end_amdgpu_metadata
